;; amdgpu-corpus repo=ROCm/rocFFT kind=compiled arch=gfx906 opt=O3
	.text
	.amdgcn_target "amdgcn-amd-amdhsa--gfx906"
	.amdhsa_code_object_version 6
	.protected	bluestein_single_back_len21_dim1_dp_op_CI_CI ; -- Begin function bluestein_single_back_len21_dim1_dp_op_CI_CI
	.globl	bluestein_single_back_len21_dim1_dp_op_CI_CI
	.p2align	8
	.type	bluestein_single_back_len21_dim1_dp_op_CI_CI,@function
bluestein_single_back_len21_dim1_dp_op_CI_CI: ; @bluestein_single_back_len21_dim1_dp_op_CI_CI
; %bb.0:
	v_mul_u32_u24_e32 v1, 0x2493, v0
	s_load_dwordx4 s[12:15], s[4:5], 0x28
	v_lshrrev_b32_e32 v1, 16, v1
	v_mad_u64_u32 v[64:65], s[0:1], s6, 18, v[1:2]
	v_mov_b32_e32 v65, 0
	s_waitcnt lgkmcnt(0)
	v_cmp_gt_u64_e32 vcc, s[12:13], v[64:65]
	s_and_saveexec_b64 s[0:1], vcc
	s_cbranch_execz .LBB0_10
; %bb.1:
	s_load_dwordx4 s[0:3], s[4:5], 0x18
	s_load_dwordx4 s[8:11], s[4:5], 0x0
	v_mul_lo_u16_e32 v1, 7, v1
	v_sub_u16_e32 v75, v0, v1
	v_lshlrev_b32_e32 v78, 4, v75
	s_waitcnt lgkmcnt(0)
	s_load_dwordx4 s[16:19], s[0:1], 0x0
	s_mov_b32 s13, 0xbfebb67a
	s_load_dwordx2 s[4:5], s[4:5], 0x38
                                        ; implicit-def: $vgpr48_vgpr49
                                        ; implicit-def: $vgpr52_vgpr53
                                        ; implicit-def: $vgpr56_vgpr57
                                        ; implicit-def: $vgpr60_vgpr61
	s_waitcnt lgkmcnt(0)
	v_mad_u64_u32 v[0:1], s[0:1], s18, v64, 0
	v_mad_u64_u32 v[2:3], s[0:1], s16, v75, 0
	s_mul_i32 s6, s17, 0x70
	v_mad_u64_u32 v[4:5], s[0:1], s19, v64, v[1:2]
	v_mad_u64_u32 v[5:6], s[0:1], s17, v75, v[3:4]
	v_mov_b32_e32 v1, v4
	v_lshlrev_b64 v[0:1], 4, v[0:1]
	v_mov_b32_e32 v3, v5
	v_mov_b32_e32 v6, s15
	v_lshlrev_b64 v[2:3], 4, v[2:3]
	v_add_co_u32_e32 v0, vcc, s14, v0
	v_addc_co_u32_e32 v1, vcc, v6, v1, vcc
	v_add_co_u32_e32 v0, vcc, v0, v2
	v_addc_co_u32_e32 v1, vcc, v1, v3, vcc
	v_mov_b32_e32 v2, 0x70
	v_mad_u64_u32 v[24:25], s[0:1], s16, v2, v[0:1]
	global_load_dwordx4 v[12:15], v[0:1], off
	v_add_co_u32_e32 v65, vcc, s8, v78
	v_add_u32_e32 v25, s6, v25
	v_mad_u64_u32 v[26:27], s[0:1], s16, v2, v[24:25]
	global_load_dwordx4 v[8:11], v78, s[8:9]
	global_load_dwordx4 v[0:3], v78, s[8:9] offset:112
	s_mov_b32 s0, 0x38e38e39
	v_add_u32_e32 v27, s6, v27
	global_load_dwordx4 v[16:19], v[24:25], off
	global_load_dwordx4 v[4:7], v78, s[8:9] offset:224
	global_load_dwordx4 v[20:23], v[26:27], off
	v_mul_hi_u32 v36, v64, s0
	s_load_dwordx4 s[0:3], s[2:3], 0x0
	s_mov_b32 s6, 0xe8584caa
	s_mov_b32 s7, 0x3febb67a
	v_lshrrev_b32_e32 v36, 2, v36
	v_mul_lo_u32 v36, v36, 18
	s_mov_b32 s12, s6
	s_waitcnt vmcnt(4)
	v_mul_f64 v[24:25], v[14:15], v[10:11]
	v_mul_f64 v[26:27], v[12:13], v[10:11]
	s_waitcnt vmcnt(2)
	v_mul_f64 v[28:29], v[18:19], v[2:3]
	v_mul_f64 v[30:31], v[16:17], v[2:3]
	;; [unrolled: 3-line block ×3, first 2 shown]
	v_fma_f64 v[12:13], v[12:13], v[8:9], v[24:25]
	v_fma_f64 v[14:15], v[14:15], v[8:9], -v[26:27]
	v_fma_f64 v[16:17], v[16:17], v[0:1], v[28:29]
	v_fma_f64 v[18:19], v[18:19], v[0:1], -v[30:31]
	;; [unrolled: 2-line block ×3, first 2 shown]
	v_sub_u32_e32 v24, v64, v36
	v_mul_u32_u24_e32 v24, 21, v24
	v_lshlrev_b32_e32 v77, 4, v24
	v_add_u32_e32 v76, v78, v77
	ds_write_b128 v76, v[12:15]
	ds_write_b128 v76, v[16:19] offset:112
	ds_write_b128 v76, v[20:23] offset:224
	s_waitcnt lgkmcnt(0)
	s_barrier
	ds_read_b128 v[12:15], v76 offset:224
	ds_read_b128 v[16:19], v76 offset:112
	ds_read_b128 v[20:23], v76
	s_waitcnt lgkmcnt(0)
	s_barrier
	v_add_f64 v[24:25], v[16:17], v[12:13]
	v_add_f64 v[26:27], v[18:19], v[14:15]
	;; [unrolled: 1-line block ×3, first 2 shown]
	v_add_f64 v[30:31], v[18:19], -v[14:15]
	v_add_f64 v[18:19], v[22:23], v[18:19]
	v_add_f64 v[16:17], v[16:17], -v[12:13]
	v_fma_f64 v[20:21], v[24:25], -0.5, v[20:21]
	v_fma_f64 v[22:23], v[26:27], -0.5, v[22:23]
	v_add_f64 v[36:37], v[28:29], v[12:13]
	v_mov_b32_e32 v25, s9
	v_add_f64 v[38:39], v[18:19], v[14:15]
	v_mul_lo_u16_e32 v24, 3, v75
	v_addc_co_u32_e32 v66, vcc, 0, v25, vcc
	v_fma_f64 v[40:41], v[30:31], s[6:7], v[20:21]
	v_fma_f64 v[44:45], v[30:31], s[12:13], v[20:21]
	;; [unrolled: 1-line block ×4, first 2 shown]
	v_lshl_add_u32 v79, v24, 4, v77
	v_cmp_gt_u16_e32 vcc, 3, v75
	ds_write_b128 v79, v[36:39]
	ds_write_b128 v79, v[40:43] offset:16
	ds_write_b128 v79, v[44:47] offset:32
	s_waitcnt lgkmcnt(0)
	s_barrier
	s_and_saveexec_b64 s[6:7], vcc
	s_cbranch_execz .LBB0_3
; %bb.2:
	ds_read_b128 v[36:39], v76
	ds_read_b128 v[40:43], v76 offset:48
	ds_read_b128 v[44:47], v76 offset:96
	;; [unrolled: 1-line block ×6, first 2 shown]
.LBB0_3:
	s_or_b64 exec, exec, s[6:7]
	s_movk_i32 s6, 0xab
	v_mul_lo_u16_sdwa v12, v75, s6 dst_sel:DWORD dst_unused:UNUSED_PAD src0_sel:BYTE_0 src1_sel:DWORD
	v_lshrrev_b16_e32 v12, 9, v12
	v_mul_lo_u16_e32 v12, 3, v12
	v_sub_u16_e32 v12, v75, v12
	v_mul_lo_u16_e32 v12, 6, v12
	v_and_b32_e32 v12, 0xfe, v12
	v_lshlrev_b32_e32 v67, 4, v12
	global_load_dwordx4 v[12:15], v67, s[10:11]
	global_load_dwordx4 v[16:19], v67, s[10:11] offset:16
	global_load_dwordx4 v[20:23], v67, s[10:11] offset:32
	;; [unrolled: 1-line block ×5, first 2 shown]
	s_mov_b32 s6, 0x36b3c0b5
	s_mov_b32 s16, 0xe976ee23
	;; [unrolled: 1-line block ×16, first 2 shown]
	s_waitcnt vmcnt(5) lgkmcnt(5)
	v_mul_f64 v[67:68], v[42:43], v[14:15]
	v_mul_f64 v[69:70], v[40:41], v[14:15]
	s_waitcnt vmcnt(4) lgkmcnt(4)
	v_mul_f64 v[71:72], v[46:47], v[18:19]
	v_mul_f64 v[73:74], v[44:45], v[18:19]
	s_waitcnt vmcnt(1) lgkmcnt(1)
	v_mul_f64 v[88:89], v[58:59], v[30:31]
	s_waitcnt vmcnt(0) lgkmcnt(0)
	v_mul_f64 v[90:91], v[62:63], v[34:35]
	v_mul_f64 v[92:93], v[56:57], v[30:31]
	;; [unrolled: 1-line block ×7, first 2 shown]
	v_fma_f64 v[40:41], v[40:41], v[12:13], -v[67:68]
	v_fma_f64 v[42:43], v[42:43], v[12:13], v[69:70]
	v_fma_f64 v[44:45], v[44:45], v[16:17], -v[71:72]
	v_fma_f64 v[46:47], v[46:47], v[16:17], v[73:74]
	v_fma_f64 v[60:61], v[60:61], v[32:33], -v[90:91]
	v_fma_f64 v[56:57], v[56:57], v[28:29], -v[88:89]
	v_fma_f64 v[62:63], v[62:63], v[32:33], v[94:95]
	v_fma_f64 v[58:59], v[58:59], v[28:29], v[92:93]
	v_fma_f64 v[48:49], v[48:49], v[20:21], -v[80:81]
	v_fma_f64 v[50:51], v[50:51], v[20:21], v[82:83]
	v_fma_f64 v[52:53], v[52:53], v[24:25], -v[84:85]
	v_fma_f64 v[54:55], v[54:55], v[24:25], v[86:87]
	v_add_f64 v[67:68], v[40:41], v[60:61]
	v_add_f64 v[69:70], v[44:45], v[56:57]
	;; [unrolled: 1-line block ×4, first 2 shown]
	v_add_f64 v[44:45], v[44:45], -v[56:57]
	v_add_f64 v[46:47], v[46:47], -v[58:59]
	v_add_f64 v[71:72], v[48:49], v[52:53]
	v_add_f64 v[82:83], v[50:51], v[54:55]
	v_add_f64 v[48:49], v[52:53], -v[48:49]
	v_add_f64 v[50:51], v[54:55], -v[50:51]
	;; [unrolled: 1-line block ×4, first 2 shown]
	v_add_f64 v[52:53], v[69:70], v[67:68]
	v_add_f64 v[54:55], v[80:81], v[73:74]
	v_add_f64 v[56:57], v[69:70], -v[67:68]
	v_add_f64 v[58:59], v[71:72], -v[69:70]
	;; [unrolled: 1-line block ×4, first 2 shown]
	v_add_f64 v[69:70], v[48:49], v[44:45]
	v_add_f64 v[80:81], v[48:49], -v[44:45]
	v_add_f64 v[84:85], v[50:51], v[46:47]
	v_add_f64 v[86:87], v[50:51], -v[46:47]
	v_add_f64 v[67:68], v[67:68], -v[71:72]
	;; [unrolled: 1-line block ×5, first 2 shown]
	v_add_f64 v[71:72], v[71:72], v[52:53]
	v_add_f64 v[82:83], v[82:83], v[54:55]
	v_add_f64 v[48:49], v[40:41], -v[48:49]
	v_add_f64 v[50:51], v[42:43], -v[50:51]
	v_add_f64 v[40:41], v[69:70], v[40:41]
	v_add_f64 v[42:43], v[84:85], v[42:43]
	v_mul_f64 v[69:70], v[80:81], s[16:17]
	v_mul_f64 v[80:81], v[86:87], s[16:17]
	;; [unrolled: 1-line block ×8, first 2 shown]
	v_add_f64 v[52:53], v[36:37], v[71:72]
	v_add_f64 v[54:55], v[38:39], v[82:83]
	v_fma_f64 v[36:37], v[56:57], s[14:15], -v[84:85]
	v_fma_f64 v[38:39], v[60:61], s[14:15], -v[86:87]
	v_fma_f64 v[44:45], v[44:45], s[12:13], -v[69:70]
	v_fma_f64 v[84:85], v[58:59], s[6:7], v[67:68]
	s_mov_b32 s15, 0xbfe77f67
	v_fma_f64 v[58:59], v[48:49], s[22:23], v[69:70]
	v_fma_f64 v[69:70], v[50:51], s[22:23], v[80:81]
	s_mov_b32 s23, 0xbfd5d0dc
	v_fma_f64 v[46:47], v[46:47], s[12:13], -v[80:81]
	v_fma_f64 v[80:81], v[62:63], s[6:7], v[73:74]
	v_fma_f64 v[62:63], v[56:57], s[14:15], -v[67:68]
	v_fma_f64 v[48:49], v[48:49], s[22:23], -v[88:89]
	v_fma_f64 v[67:68], v[71:72], s[10:11], v[52:53]
	v_fma_f64 v[82:83], v[82:83], s[10:11], v[54:55]
	v_fma_f64 v[50:51], v[50:51], s[22:23], -v[90:91]
	v_fma_f64 v[73:74], v[60:61], s[14:15], -v[73:74]
	v_fma_f64 v[44:45], v[40:41], s[18:19], v[44:45]
	v_fma_f64 v[46:47], v[42:43], s[18:19], v[46:47]
	;; [unrolled: 1-line block ×4, first 2 shown]
	v_add_f64 v[86:87], v[36:37], v[67:68]
	v_add_f64 v[88:89], v[38:39], v[82:83]
	v_fma_f64 v[71:72], v[40:41], s[18:19], v[48:49]
	v_fma_f64 v[60:61], v[42:43], s[18:19], v[50:51]
	v_add_f64 v[62:63], v[62:63], v[67:68]
	v_add_f64 v[73:74], v[73:74], v[82:83]
	;; [unrolled: 1-line block ×4, first 2 shown]
	v_add_f64 v[36:37], v[86:87], -v[46:47]
	v_add_f64 v[38:39], v[44:45], v[88:89]
	v_add_f64 v[40:41], v[46:47], v[86:87]
	v_add_f64 v[42:43], v[88:89], -v[44:45]
	v_add_f64 v[44:45], v[62:63], -v[60:61]
	v_add_f64 v[46:47], v[71:72], v[73:74]
	v_add_f64 v[48:49], v[67:68], -v[56:57]
	v_add_f64 v[50:51], v[58:59], v[69:70]
	s_and_saveexec_b64 s[6:7], vcc
	s_cbranch_execz .LBB0_5
; %bb.4:
	v_add_f64 v[58:59], v[69:70], -v[58:59]
	v_add_f64 v[56:57], v[56:57], v[67:68]
	v_add_f64 v[71:72], v[73:74], -v[71:72]
	v_add_f64 v[69:70], v[60:61], v[62:63]
	ds_write_b128 v76, v[52:55]
	v_lshl_add_u32 v52, v75, 4, v77
	ds_write_b128 v52, v[36:39] offset:144
	ds_write_b128 v52, v[56:59] offset:48
	;; [unrolled: 1-line block ×6, first 2 shown]
.LBB0_5:
	s_or_b64 exec, exec, s[6:7]
	s_add_u32 s6, s8, 0x150
	s_waitcnt lgkmcnt(0)
	s_barrier
	global_load_dwordx4 v[52:55], v[65:66], off offset:336
	s_addc_u32 s7, s9, 0
	global_load_dwordx4 v[56:59], v78, s[6:7] offset:112
	global_load_dwordx4 v[60:63], v78, s[6:7] offset:224
	ds_read_b128 v[65:68], v76
	ds_read_b128 v[69:72], v76 offset:112
	ds_read_b128 v[80:83], v76 offset:224
	s_mov_b32 s6, 0xe8584caa
	s_mov_b32 s7, 0xbfebb67a
	;; [unrolled: 1-line block ×4, first 2 shown]
	s_waitcnt vmcnt(2) lgkmcnt(2)
	v_mul_f64 v[73:74], v[67:68], v[54:55]
	v_mul_f64 v[54:55], v[65:66], v[54:55]
	s_waitcnt vmcnt(1) lgkmcnt(1)
	v_mul_f64 v[84:85], v[71:72], v[58:59]
	v_mul_f64 v[58:59], v[69:70], v[58:59]
	;; [unrolled: 3-line block ×3, first 2 shown]
	v_fma_f64 v[65:66], v[65:66], v[52:53], -v[73:74]
	v_fma_f64 v[67:68], v[67:68], v[52:53], v[54:55]
	v_fma_f64 v[52:53], v[69:70], v[56:57], -v[84:85]
	v_fma_f64 v[54:55], v[71:72], v[56:57], v[58:59]
	;; [unrolled: 2-line block ×3, first 2 shown]
	ds_write_b128 v76, v[65:68]
	ds_write_b128 v76, v[52:55] offset:112
	ds_write_b128 v76, v[56:59] offset:224
	s_waitcnt lgkmcnt(0)
	s_barrier
	ds_read_b128 v[52:55], v76 offset:112
	ds_read_b128 v[56:59], v76 offset:224
	ds_read_b128 v[60:63], v76
	s_waitcnt lgkmcnt(0)
	s_barrier
	v_add_f64 v[65:66], v[52:53], v[56:57]
	v_add_f64 v[67:68], v[54:55], v[58:59]
	;; [unrolled: 1-line block ×3, first 2 shown]
	v_add_f64 v[71:72], v[54:55], -v[58:59]
	v_add_f64 v[54:55], v[62:63], v[54:55]
	v_add_f64 v[73:74], v[52:53], -v[56:57]
	v_fma_f64 v[60:61], v[65:66], -0.5, v[60:61]
	v_fma_f64 v[62:63], v[67:68], -0.5, v[62:63]
	v_add_f64 v[52:53], v[69:70], v[56:57]
	v_add_f64 v[54:55], v[54:55], v[58:59]
	v_fma_f64 v[56:57], v[71:72], s[6:7], v[60:61]
	v_fma_f64 v[60:61], v[71:72], s[8:9], v[60:61]
	v_fma_f64 v[58:59], v[73:74], s[8:9], v[62:63]
	v_fma_f64 v[62:63], v[73:74], s[6:7], v[62:63]
	ds_write_b128 v79, v[52:55]
	ds_write_b128 v79, v[56:59] offset:16
	ds_write_b128 v79, v[60:63] offset:32
	s_waitcnt lgkmcnt(0)
	s_barrier
	s_and_saveexec_b64 s[6:7], vcc
	s_cbranch_execz .LBB0_7
; %bb.6:
	ds_read_b128 v[52:55], v76
	ds_read_b128 v[56:59], v76 offset:48
	ds_read_b128 v[60:63], v76 offset:96
	;; [unrolled: 1-line block ×6, first 2 shown]
.LBB0_7:
	s_or_b64 exec, exec, s[6:7]
	s_and_saveexec_b64 s[6:7], vcc
	s_cbranch_execz .LBB0_9
; %bb.8:
	s_waitcnt lgkmcnt(5)
	v_mul_f64 v[65:66], v[14:15], v[58:59]
	s_waitcnt lgkmcnt(0)
	v_mul_f64 v[67:68], v[34:35], v[50:51]
	v_mul_f64 v[69:70], v[26:27], v[42:43]
	;; [unrolled: 1-line block ×9, first 2 shown]
	v_fma_f64 v[69:70], v[24:25], v[40:41], v[69:70]
	v_fma_f64 v[71:72], v[20:21], v[36:37], v[71:72]
	;; [unrolled: 1-line block ×4, first 2 shown]
	v_fma_f64 v[34:35], v[32:33], v[50:51], -v[34:35]
	v_fma_f64 v[50:51], v[12:13], v[58:59], -v[14:15]
	v_fma_f64 v[28:29], v[28:29], v[46:47], -v[30:31]
	v_fma_f64 v[16:17], v[16:17], v[62:63], -v[18:19]
	v_mul_f64 v[14:15], v[22:23], v[36:37]
	v_mul_f64 v[18:19], v[26:27], v[40:41]
	v_fma_f64 v[12:13], v[12:13], v[56:57], v[65:66]
	v_fma_f64 v[22:23], v[32:33], v[48:49], v[67:68]
	v_add_f64 v[26:27], v[69:70], -v[71:72]
	v_add_f64 v[30:31], v[60:61], -v[44:45]
	v_add_f64 v[32:33], v[50:51], v[34:35]
	v_add_f64 v[36:37], v[16:17], v[28:29]
	v_fma_f64 v[20:21], v[20:21], v[38:39], -v[14:15]
	v_fma_f64 v[18:19], v[24:25], v[42:43], -v[18:19]
	s_mov_b32 s10, 0xe976ee23
	v_add_f64 v[24:25], v[12:13], -v[22:23]
	s_mov_b32 s11, 0x3fe11646
	v_add_f64 v[14:15], v[26:27], -v[30:31]
	v_add_f64 v[22:23], v[12:13], v[22:23]
	v_add_f64 v[38:39], v[36:37], v[32:33]
	;; [unrolled: 1-line block ×4, first 2 shown]
	v_add_f64 v[20:21], v[18:19], -v[20:21]
	v_add_f64 v[42:43], v[24:25], -v[26:27]
	;; [unrolled: 1-line block ×3, first 2 shown]
	v_mul_f64 v[46:47], v[14:15], s[10:11]
	v_add_f64 v[14:15], v[26:27], v[30:31]
	v_add_f64 v[56:57], v[71:72], v[69:70]
	v_add_f64 v[34:35], v[50:51], -v[34:35]
	v_add_f64 v[26:27], v[40:41], v[38:39]
	s_mov_b32 s9, 0xbfd5d0dc
	s_mov_b32 s8, 0xb247c609
	v_add_f64 v[50:51], v[20:21], -v[16:17]
	v_add_f64 v[38:39], v[32:33], -v[40:41]
	v_add_f64 v[48:49], v[14:15], v[24:25]
	v_add_f64 v[24:25], v[30:31], -v[24:25]
	v_fma_f64 v[12:13], v[42:43], s[8:9], v[46:47]
	v_add_f64 v[14:15], v[54:55], v[26:27]
	v_add_f64 v[54:55], v[44:45], v[22:23]
	s_mov_b32 s12, 0x37e14327
	v_mul_f64 v[50:51], v[50:51], s[10:11]
	s_mov_b32 s10, 0x429ad128
	s_mov_b32 s13, 0x3fe948f6
	;; [unrolled: 1-line block ×3, first 2 shown]
	v_add_f64 v[30:31], v[34:35], -v[20:21]
	s_mov_b32 s11, 0xbfebfeb5
	v_add_f64 v[28:29], v[56:57], v[54:55]
	v_add_f64 v[54:55], v[22:23], -v[56:57]
	v_mul_f64 v[38:39], v[38:39], s[12:13]
	v_add_f64 v[40:41], v[40:41], -v[36:37]
	s_mov_b32 s19, 0xbfdc38aa
	v_mul_f64 v[62:63], v[24:25], s[10:11]
	v_add_f64 v[32:33], v[36:37], -v[32:33]
	v_add_f64 v[36:37], v[16:17], -v[34:35]
	v_fma_f64 v[58:59], v[48:49], s[18:19], v[12:13]
	v_add_f64 v[12:13], v[52:53], v[28:29]
	v_add_f64 v[52:53], v[56:57], -v[44:45]
	s_mov_b32 s16, 0x36b3c0b5
	s_mov_b32 s17, 0x3fac98ee
	v_mul_f64 v[54:55], v[54:55], s[12:13]
	v_fma_f64 v[65:66], v[30:31], s[8:9], v[50:51]
	v_add_f64 v[22:23], v[44:45], -v[22:23]
	v_add_f64 v[16:17], v[20:21], v[16:17]
	s_mov_b32 s9, 0x3fd5d0dc
	v_fma_f64 v[18:19], v[40:41], s[16:17], v[38:39]
	v_mul_f64 v[40:41], v[40:41], s[16:17]
	v_fma_f64 v[20:21], v[42:43], s[8:9], -v[62:63]
	v_mul_f64 v[42:43], v[36:37], s[10:11]
	v_mul_f64 v[56:57], v[52:53], s[16:17]
	s_mov_b32 s14, 0xaaaaaaaa
	s_mov_b32 s15, 0xbff2aaaa
	;; [unrolled: 1-line block ×4, first 2 shown]
	v_fma_f64 v[26:27], v[26:27], s[14:15], v[14:15]
	v_fma_f64 v[28:29], v[28:29], s[14:15], v[12:13]
	;; [unrolled: 1-line block ×3, first 2 shown]
	v_fma_f64 v[38:39], v[32:33], s[12:13], -v[38:39]
	v_fma_f64 v[44:45], v[22:23], s[12:13], -v[54:55]
	s_mov_b32 s13, 0x3fe77f67
	v_add_f64 v[16:17], v[16:17], v[34:35]
	v_fma_f64 v[32:33], v[32:33], s[12:13], -v[40:41]
	v_fma_f64 v[24:25], v[24:25], s[10:11], -v[46:47]
	;; [unrolled: 1-line block ×5, first 2 shown]
	v_add_f64 v[60:61], v[18:19], v[26:27]
	v_add_f64 v[40:41], v[52:53], v[28:29]
	v_fma_f64 v[42:43], v[16:17], s[18:19], v[65:66]
	v_fma_f64 v[20:21], v[48:49], s[18:19], v[20:21]
	v_add_f64 v[34:35], v[38:39], v[26:27]
	v_add_f64 v[32:33], v[32:33], v[26:27]
	v_fma_f64 v[24:25], v[48:49], s[18:19], v[24:25]
	v_add_f64 v[44:45], v[44:45], v[28:29]
	v_fma_f64 v[46:47], v[16:17], s[18:19], v[30:31]
	;; [unrolled: 2-line block ×3, first 2 shown]
	v_add_f64 v[38:39], v[60:61], -v[58:59]
	v_add_f64 v[36:37], v[42:43], v[40:41]
	v_add_f64 v[22:23], v[20:21], v[34:35]
	v_add_f64 v[26:27], v[32:33], -v[24:25]
	v_add_f64 v[30:31], v[24:25], v[32:33]
	v_add_f64 v[34:35], v[34:35], -v[20:21]
	v_add_f64 v[32:33], v[46:47], v[44:45]
	v_add_f64 v[28:29], v[48:49], -v[16:17]
	v_add_f64 v[24:25], v[16:17], v[48:49]
	v_add_f64 v[20:21], v[44:45], -v[46:47]
	v_add_f64 v[18:19], v[58:59], v[60:61]
	v_add_f64 v[16:17], v[40:41], -v[42:43]
	ds_write_b128 v76, v[12:15]
	v_lshl_add_u32 v12, v75, 4, v77
	ds_write_b128 v12, v[36:39] offset:48
	ds_write_b128 v12, v[32:35] offset:96
	;; [unrolled: 1-line block ×6, first 2 shown]
.LBB0_9:
	s_or_b64 exec, exec, s[6:7]
	s_waitcnt lgkmcnt(0)
	s_barrier
	ds_read_b128 v[12:15], v76
	ds_read_b128 v[16:19], v76 offset:112
	v_mad_u64_u32 v[20:21], s[6:7], s2, v64, 0
	s_waitcnt lgkmcnt(1)
	v_mul_f64 v[22:23], v[10:11], v[14:15]
	v_mul_f64 v[10:11], v[10:11], v[12:13]
	v_mad_u64_u32 v[24:25], s[2:3], s3, v64, v[21:22]
	v_mad_u64_u32 v[25:26], s[2:3], s0, v75, 0
	v_fma_f64 v[12:13], v[8:9], v[12:13], v[22:23]
	v_fma_f64 v[10:11], v[8:9], v[14:15], -v[10:11]
	v_mov_b32_e32 v8, v26
	v_mad_u64_u32 v[14:15], s[2:3], s1, v75, v[8:9]
	s_mov_b32 s2, 0x18618618
	s_mov_b32 s3, 0x3fa86186
	v_mov_b32_e32 v26, v14
	v_mul_f64 v[8:9], v[12:13], s[2:3]
	ds_read_b128 v[12:15], v76 offset:224
	v_mov_b32_e32 v21, v24
	v_lshlrev_b64 v[20:21], 4, v[20:21]
	s_waitcnt lgkmcnt(1)
	v_mul_f64 v[22:23], v[2:3], v[18:19]
	v_mov_b32_e32 v24, s5
	v_add_co_u32_e32 v27, vcc, s4, v20
	v_addc_co_u32_e32 v28, vcc, v24, v21, vcc
	v_lshlrev_b64 v[20:21], 4, v[25:26]
	s_waitcnt lgkmcnt(0)
	v_mul_f64 v[24:25], v[6:7], v[14:15]
	v_mul_f64 v[6:7], v[6:7], v[12:13]
	;; [unrolled: 1-line block ×3, first 2 shown]
	v_fma_f64 v[16:17], v[0:1], v[16:17], v[22:23]
	v_mul_f64 v[10:11], v[10:11], s[2:3]
	v_fma_f64 v[12:13], v[4:5], v[12:13], v[24:25]
	v_fma_f64 v[6:7], v[4:5], v[14:15], -v[6:7]
	v_fma_f64 v[2:3], v[0:1], v[18:19], -v[2:3]
	v_add_co_u32_e32 v18, vcc, v27, v20
	v_addc_co_u32_e32 v19, vcc, v28, v21, vcc
	v_mul_f64 v[0:1], v[16:17], s[2:3]
	v_mov_b32_e32 v16, 0x70
	v_mad_u64_u32 v[14:15], s[4:5], s0, v16, v[18:19]
	v_mul_f64 v[4:5], v[12:13], s[2:3]
	v_mul_f64 v[6:7], v[6:7], s[2:3]
	;; [unrolled: 1-line block ×3, first 2 shown]
	s_mul_i32 s4, s1, 0x70
	v_add_u32_e32 v15, s4, v15
	v_mad_u64_u32 v[12:13], s[0:1], s0, v16, v[14:15]
	global_store_dwordx4 v[18:19], v[8:11], off
	global_store_dwordx4 v[14:15], v[0:3], off
	v_add_u32_e32 v13, s4, v13
	global_store_dwordx4 v[12:13], v[4:7], off
.LBB0_10:
	s_endpgm
	.section	.rodata,"a",@progbits
	.p2align	6, 0x0
	.amdhsa_kernel bluestein_single_back_len21_dim1_dp_op_CI_CI
		.amdhsa_group_segment_fixed_size 6048
		.amdhsa_private_segment_fixed_size 0
		.amdhsa_kernarg_size 104
		.amdhsa_user_sgpr_count 6
		.amdhsa_user_sgpr_private_segment_buffer 1
		.amdhsa_user_sgpr_dispatch_ptr 0
		.amdhsa_user_sgpr_queue_ptr 0
		.amdhsa_user_sgpr_kernarg_segment_ptr 1
		.amdhsa_user_sgpr_dispatch_id 0
		.amdhsa_user_sgpr_flat_scratch_init 0
		.amdhsa_user_sgpr_private_segment_size 0
		.amdhsa_uses_dynamic_stack 0
		.amdhsa_system_sgpr_private_segment_wavefront_offset 0
		.amdhsa_system_sgpr_workgroup_id_x 1
		.amdhsa_system_sgpr_workgroup_id_y 0
		.amdhsa_system_sgpr_workgroup_id_z 0
		.amdhsa_system_sgpr_workgroup_info 0
		.amdhsa_system_vgpr_workitem_id 0
		.amdhsa_next_free_vgpr 96
		.amdhsa_next_free_sgpr 24
		.amdhsa_reserve_vcc 1
		.amdhsa_reserve_flat_scratch 0
		.amdhsa_float_round_mode_32 0
		.amdhsa_float_round_mode_16_64 0
		.amdhsa_float_denorm_mode_32 3
		.amdhsa_float_denorm_mode_16_64 3
		.amdhsa_dx10_clamp 1
		.amdhsa_ieee_mode 1
		.amdhsa_fp16_overflow 0
		.amdhsa_exception_fp_ieee_invalid_op 0
		.amdhsa_exception_fp_denorm_src 0
		.amdhsa_exception_fp_ieee_div_zero 0
		.amdhsa_exception_fp_ieee_overflow 0
		.amdhsa_exception_fp_ieee_underflow 0
		.amdhsa_exception_fp_ieee_inexact 0
		.amdhsa_exception_int_div_zero 0
	.end_amdhsa_kernel
	.text
.Lfunc_end0:
	.size	bluestein_single_back_len21_dim1_dp_op_CI_CI, .Lfunc_end0-bluestein_single_back_len21_dim1_dp_op_CI_CI
                                        ; -- End function
	.section	.AMDGPU.csdata,"",@progbits
; Kernel info:
; codeLenInByte = 3804
; NumSgprs: 28
; NumVgprs: 96
; ScratchSize: 0
; MemoryBound: 0
; FloatMode: 240
; IeeeMode: 1
; LDSByteSize: 6048 bytes/workgroup (compile time only)
; SGPRBlocks: 3
; VGPRBlocks: 23
; NumSGPRsForWavesPerEU: 28
; NumVGPRsForWavesPerEU: 96
; Occupancy: 2
; WaveLimiterHint : 1
; COMPUTE_PGM_RSRC2:SCRATCH_EN: 0
; COMPUTE_PGM_RSRC2:USER_SGPR: 6
; COMPUTE_PGM_RSRC2:TRAP_HANDLER: 0
; COMPUTE_PGM_RSRC2:TGID_X_EN: 1
; COMPUTE_PGM_RSRC2:TGID_Y_EN: 0
; COMPUTE_PGM_RSRC2:TGID_Z_EN: 0
; COMPUTE_PGM_RSRC2:TIDIG_COMP_CNT: 0
	.type	__hip_cuid_2e02774dad9e975e,@object ; @__hip_cuid_2e02774dad9e975e
	.section	.bss,"aw",@nobits
	.globl	__hip_cuid_2e02774dad9e975e
__hip_cuid_2e02774dad9e975e:
	.byte	0                               ; 0x0
	.size	__hip_cuid_2e02774dad9e975e, 1

	.ident	"AMD clang version 19.0.0git (https://github.com/RadeonOpenCompute/llvm-project roc-6.4.0 25133 c7fe45cf4b819c5991fe208aaa96edf142730f1d)"
	.section	".note.GNU-stack","",@progbits
	.addrsig
	.addrsig_sym __hip_cuid_2e02774dad9e975e
	.amdgpu_metadata
---
amdhsa.kernels:
  - .args:
      - .actual_access:  read_only
        .address_space:  global
        .offset:         0
        .size:           8
        .value_kind:     global_buffer
      - .actual_access:  read_only
        .address_space:  global
        .offset:         8
        .size:           8
        .value_kind:     global_buffer
      - .actual_access:  read_only
        .address_space:  global
        .offset:         16
        .size:           8
        .value_kind:     global_buffer
      - .actual_access:  read_only
        .address_space:  global
        .offset:         24
        .size:           8
        .value_kind:     global_buffer
      - .actual_access:  read_only
        .address_space:  global
        .offset:         32
        .size:           8
        .value_kind:     global_buffer
      - .offset:         40
        .size:           8
        .value_kind:     by_value
      - .address_space:  global
        .offset:         48
        .size:           8
        .value_kind:     global_buffer
      - .address_space:  global
        .offset:         56
        .size:           8
        .value_kind:     global_buffer
      - .address_space:  global
        .offset:         64
        .size:           8
        .value_kind:     global_buffer
      - .address_space:  global
        .offset:         72
        .size:           8
        .value_kind:     global_buffer
      - .offset:         80
        .size:           4
        .value_kind:     by_value
      - .address_space:  global
        .offset:         88
        .size:           8
        .value_kind:     global_buffer
      - .address_space:  global
        .offset:         96
        .size:           8
        .value_kind:     global_buffer
    .group_segment_fixed_size: 6048
    .kernarg_segment_align: 8
    .kernarg_segment_size: 104
    .language:       OpenCL C
    .language_version:
      - 2
      - 0
    .max_flat_workgroup_size: 126
    .name:           bluestein_single_back_len21_dim1_dp_op_CI_CI
    .private_segment_fixed_size: 0
    .sgpr_count:     28
    .sgpr_spill_count: 0
    .symbol:         bluestein_single_back_len21_dim1_dp_op_CI_CI.kd
    .uniform_work_group_size: 1
    .uses_dynamic_stack: false
    .vgpr_count:     96
    .vgpr_spill_count: 0
    .wavefront_size: 64
amdhsa.target:   amdgcn-amd-amdhsa--gfx906
amdhsa.version:
  - 1
  - 2
...

	.end_amdgpu_metadata
